;; amdgpu-corpus repo=ROCm/rocFFT kind=compiled arch=gfx906 opt=O3
	.text
	.amdgcn_target "amdgcn-amd-amdhsa--gfx906"
	.amdhsa_code_object_version 6
	.protected	fft_rtc_fwd_len297_factors_9_3_11_wgs_231_tpt_33_halfLds_dp_ip_CI_unitstride_sbrr_dirReg ; -- Begin function fft_rtc_fwd_len297_factors_9_3_11_wgs_231_tpt_33_halfLds_dp_ip_CI_unitstride_sbrr_dirReg
	.globl	fft_rtc_fwd_len297_factors_9_3_11_wgs_231_tpt_33_halfLds_dp_ip_CI_unitstride_sbrr_dirReg
	.p2align	8
	.type	fft_rtc_fwd_len297_factors_9_3_11_wgs_231_tpt_33_halfLds_dp_ip_CI_unitstride_sbrr_dirReg,@function
fft_rtc_fwd_len297_factors_9_3_11_wgs_231_tpt_33_halfLds_dp_ip_CI_unitstride_sbrr_dirReg: ; @fft_rtc_fwd_len297_factors_9_3_11_wgs_231_tpt_33_halfLds_dp_ip_CI_unitstride_sbrr_dirReg
; %bb.0:
	v_mul_u32_u24_e32 v1, 0x7c2, v0
	s_load_dwordx2 s[2:3], s[4:5], 0x50
	s_load_dwordx4 s[8:11], s[4:5], 0x0
	s_load_dwordx2 s[12:13], s[4:5], 0x18
	v_lshrrev_b32_e32 v1, 16, v1
	v_mad_u64_u32 v[36:37], s[0:1], s6, 7, v[1:2]
	v_mov_b32_e32 v3, 0
	s_waitcnt lgkmcnt(0)
	v_cmp_lt_u64_e64 s[0:1], s[10:11], 2
	v_mov_b32_e32 v37, v3
	v_mov_b32_e32 v1, 0
	;; [unrolled: 1-line block ×3, first 2 shown]
	s_and_b64 vcc, exec, s[0:1]
	v_mov_b32_e32 v2, 0
	v_mov_b32_e32 v8, v37
	s_cbranch_vccnz .LBB0_8
; %bb.1:
	s_load_dwordx2 s[0:1], s[4:5], 0x10
	s_add_u32 s6, s12, 8
	s_addc_u32 s7, s13, 0
	v_mov_b32_e32 v1, 0
	v_mov_b32_e32 v5, v36
	s_waitcnt lgkmcnt(0)
	s_add_u32 s16, s0, 8
	s_mov_b64 s[14:15], 1
	v_mov_b32_e32 v2, 0
	s_addc_u32 s17, s1, 0
	v_mov_b32_e32 v6, v37
.LBB0_2:                                ; =>This Inner Loop Header: Depth=1
	s_load_dwordx2 s[18:19], s[16:17], 0x0
                                        ; implicit-def: $vgpr7_vgpr8
	s_waitcnt lgkmcnt(0)
	v_or_b32_e32 v4, s19, v6
	v_cmp_ne_u64_e32 vcc, 0, v[3:4]
	s_and_saveexec_b64 s[0:1], vcc
	s_xor_b64 s[20:21], exec, s[0:1]
	s_cbranch_execz .LBB0_4
; %bb.3:                                ;   in Loop: Header=BB0_2 Depth=1
	v_cvt_f32_u32_e32 v4, s18
	v_cvt_f32_u32_e32 v7, s19
	s_sub_u32 s0, 0, s18
	s_subb_u32 s1, 0, s19
	v_mac_f32_e32 v4, 0x4f800000, v7
	v_rcp_f32_e32 v4, v4
	v_mul_f32_e32 v4, 0x5f7ffffc, v4
	v_mul_f32_e32 v7, 0x2f800000, v4
	v_trunc_f32_e32 v7, v7
	v_mac_f32_e32 v4, 0xcf800000, v7
	v_cvt_u32_f32_e32 v7, v7
	v_cvt_u32_f32_e32 v4, v4
	v_mul_lo_u32 v8, s0, v7
	v_mul_hi_u32 v9, s0, v4
	v_mul_lo_u32 v11, s1, v4
	v_mul_lo_u32 v10, s0, v4
	v_add_u32_e32 v8, v9, v8
	v_add_u32_e32 v8, v8, v11
	v_mul_hi_u32 v9, v4, v10
	v_mul_lo_u32 v11, v4, v8
	v_mul_hi_u32 v13, v4, v8
	v_mul_hi_u32 v12, v7, v10
	v_mul_lo_u32 v10, v7, v10
	v_mul_hi_u32 v14, v7, v8
	v_add_co_u32_e32 v9, vcc, v9, v11
	v_addc_co_u32_e32 v11, vcc, 0, v13, vcc
	v_mul_lo_u32 v8, v7, v8
	v_add_co_u32_e32 v9, vcc, v9, v10
	v_addc_co_u32_e32 v9, vcc, v11, v12, vcc
	v_addc_co_u32_e32 v10, vcc, 0, v14, vcc
	v_add_co_u32_e32 v8, vcc, v9, v8
	v_addc_co_u32_e32 v9, vcc, 0, v10, vcc
	v_add_co_u32_e32 v4, vcc, v4, v8
	v_addc_co_u32_e32 v7, vcc, v7, v9, vcc
	v_mul_lo_u32 v8, s0, v7
	v_mul_hi_u32 v9, s0, v4
	v_mul_lo_u32 v10, s1, v4
	v_mul_lo_u32 v11, s0, v4
	v_add_u32_e32 v8, v9, v8
	v_add_u32_e32 v8, v8, v10
	v_mul_lo_u32 v12, v4, v8
	v_mul_hi_u32 v13, v4, v11
	v_mul_hi_u32 v14, v4, v8
	;; [unrolled: 1-line block ×3, first 2 shown]
	v_mul_lo_u32 v11, v7, v11
	v_mul_hi_u32 v9, v7, v8
	v_add_co_u32_e32 v12, vcc, v13, v12
	v_addc_co_u32_e32 v13, vcc, 0, v14, vcc
	v_mul_lo_u32 v8, v7, v8
	v_add_co_u32_e32 v11, vcc, v12, v11
	v_addc_co_u32_e32 v10, vcc, v13, v10, vcc
	v_addc_co_u32_e32 v9, vcc, 0, v9, vcc
	v_add_co_u32_e32 v8, vcc, v10, v8
	v_addc_co_u32_e32 v9, vcc, 0, v9, vcc
	v_add_co_u32_e32 v4, vcc, v4, v8
	v_addc_co_u32_e32 v9, vcc, v7, v9, vcc
	v_mad_u64_u32 v[7:8], s[0:1], v5, v9, 0
	v_mul_hi_u32 v10, v5, v4
	v_add_co_u32_e32 v11, vcc, v10, v7
	v_addc_co_u32_e32 v12, vcc, 0, v8, vcc
	v_mad_u64_u32 v[7:8], s[0:1], v6, v4, 0
	v_mad_u64_u32 v[9:10], s[0:1], v6, v9, 0
	v_add_co_u32_e32 v4, vcc, v11, v7
	v_addc_co_u32_e32 v4, vcc, v12, v8, vcc
	v_addc_co_u32_e32 v7, vcc, 0, v10, vcc
	v_add_co_u32_e32 v4, vcc, v4, v9
	v_addc_co_u32_e32 v9, vcc, 0, v7, vcc
	v_mul_lo_u32 v10, s19, v4
	v_mul_lo_u32 v11, s18, v9
	v_mad_u64_u32 v[7:8], s[0:1], s18, v4, 0
	v_add3_u32 v8, v8, v11, v10
	v_sub_u32_e32 v10, v6, v8
	v_mov_b32_e32 v11, s19
	v_sub_co_u32_e32 v7, vcc, v5, v7
	v_subb_co_u32_e64 v10, s[0:1], v10, v11, vcc
	v_subrev_co_u32_e64 v11, s[0:1], s18, v7
	v_subbrev_co_u32_e64 v10, s[0:1], 0, v10, s[0:1]
	v_cmp_le_u32_e64 s[0:1], s19, v10
	v_cndmask_b32_e64 v12, 0, -1, s[0:1]
	v_cmp_le_u32_e64 s[0:1], s18, v11
	v_cndmask_b32_e64 v11, 0, -1, s[0:1]
	v_cmp_eq_u32_e64 s[0:1], s19, v10
	v_cndmask_b32_e64 v10, v12, v11, s[0:1]
	v_add_co_u32_e64 v11, s[0:1], 2, v4
	v_addc_co_u32_e64 v12, s[0:1], 0, v9, s[0:1]
	v_add_co_u32_e64 v13, s[0:1], 1, v4
	v_addc_co_u32_e64 v14, s[0:1], 0, v9, s[0:1]
	v_subb_co_u32_e32 v8, vcc, v6, v8, vcc
	v_cmp_ne_u32_e64 s[0:1], 0, v10
	v_cmp_le_u32_e32 vcc, s19, v8
	v_cndmask_b32_e64 v10, v14, v12, s[0:1]
	v_cndmask_b32_e64 v12, 0, -1, vcc
	v_cmp_le_u32_e32 vcc, s18, v7
	v_cndmask_b32_e64 v7, 0, -1, vcc
	v_cmp_eq_u32_e32 vcc, s19, v8
	v_cndmask_b32_e32 v7, v12, v7, vcc
	v_cmp_ne_u32_e32 vcc, 0, v7
	v_cndmask_b32_e64 v7, v13, v11, s[0:1]
	v_cndmask_b32_e32 v8, v9, v10, vcc
	v_cndmask_b32_e32 v7, v4, v7, vcc
.LBB0_4:                                ;   in Loop: Header=BB0_2 Depth=1
	s_andn2_saveexec_b64 s[0:1], s[20:21]
	s_cbranch_execz .LBB0_6
; %bb.5:                                ;   in Loop: Header=BB0_2 Depth=1
	v_cvt_f32_u32_e32 v4, s18
	s_sub_i32 s20, 0, s18
	v_rcp_iflag_f32_e32 v4, v4
	v_mul_f32_e32 v4, 0x4f7ffffe, v4
	v_cvt_u32_f32_e32 v4, v4
	v_mul_lo_u32 v7, s20, v4
	v_mul_hi_u32 v7, v4, v7
	v_add_u32_e32 v4, v4, v7
	v_mul_hi_u32 v4, v5, v4
	v_mul_lo_u32 v7, v4, s18
	v_add_u32_e32 v8, 1, v4
	v_sub_u32_e32 v7, v5, v7
	v_subrev_u32_e32 v9, s18, v7
	v_cmp_le_u32_e32 vcc, s18, v7
	v_cndmask_b32_e32 v7, v7, v9, vcc
	v_cndmask_b32_e32 v4, v4, v8, vcc
	v_add_u32_e32 v8, 1, v4
	v_cmp_le_u32_e32 vcc, s18, v7
	v_cndmask_b32_e32 v7, v4, v8, vcc
	v_mov_b32_e32 v8, v3
.LBB0_6:                                ;   in Loop: Header=BB0_2 Depth=1
	s_or_b64 exec, exec, s[0:1]
	v_mul_lo_u32 v4, v8, s18
	v_mul_lo_u32 v11, v7, s19
	v_mad_u64_u32 v[9:10], s[0:1], v7, s18, 0
	s_load_dwordx2 s[0:1], s[6:7], 0x0
	s_add_u32 s14, s14, 1
	v_add3_u32 v4, v10, v11, v4
	v_sub_co_u32_e32 v5, vcc, v5, v9
	v_subb_co_u32_e32 v4, vcc, v6, v4, vcc
	s_waitcnt lgkmcnt(0)
	v_mul_lo_u32 v4, s0, v4
	v_mul_lo_u32 v6, s1, v5
	v_mad_u64_u32 v[1:2], s[0:1], s0, v5, v[1:2]
	s_addc_u32 s15, s15, 0
	s_add_u32 s6, s6, 8
	v_add3_u32 v2, v6, v2, v4
	v_mov_b32_e32 v4, s10
	v_mov_b32_e32 v5, s11
	s_addc_u32 s7, s7, 0
	v_cmp_ge_u64_e32 vcc, s[14:15], v[4:5]
	s_add_u32 s16, s16, 8
	s_addc_u32 s17, s17, 0
	s_cbranch_vccnz .LBB0_8
; %bb.7:                                ;   in Loop: Header=BB0_2 Depth=1
	v_mov_b32_e32 v5, v7
	v_mov_b32_e32 v6, v8
	s_branch .LBB0_2
.LBB0_8:
	s_lshl_b64 s[0:1], s[10:11], 3
	s_add_u32 s0, s12, s0
	s_addc_u32 s1, s13, s1
	s_load_dwordx2 s[6:7], s[0:1], 0x0
	s_load_dwordx2 s[10:11], s[4:5], 0x20
                                        ; implicit-def: $vgpr30_vgpr31
                                        ; implicit-def: $vgpr22_vgpr23
                                        ; implicit-def: $vgpr18_vgpr19
                                        ; implicit-def: $vgpr10_vgpr11
                                        ; implicit-def: $vgpr14_vgpr15
                                        ; implicit-def: $vgpr26_vgpr27
                                        ; implicit-def: $vgpr34_vgpr35
	s_waitcnt lgkmcnt(0)
	v_mad_u64_u32 v[1:2], s[0:1], s6, v7, v[1:2]
	v_mul_lo_u32 v3, s6, v8
	v_mul_lo_u32 v4, s7, v7
	s_mov_b32 s0, 0x7c1f07d
	v_mul_hi_u32 v5, v0, s0
	v_cmp_gt_u64_e64 s[0:1], s[10:11], v[7:8]
	v_add3_u32 v2, v4, v2, v3
	v_lshlrev_b64 v[42:43], 4, v[1:2]
	v_mul_u32_u24_e32 v3, 33, v5
	v_sub_u32_e32 v40, v0, v3
                                        ; implicit-def: $vgpr6_vgpr7
                                        ; implicit-def: $vgpr2_vgpr3
	s_and_saveexec_b64 s[4:5], s[0:1]
	s_cbranch_execz .LBB0_10
; %bb.9:
	v_mov_b32_e32 v41, 0
	v_mov_b32_e32 v0, s3
	v_add_co_u32_e32 v2, vcc, s2, v42
	v_addc_co_u32_e32 v3, vcc, v0, v43, vcc
	v_lshlrev_b64 v[0:1], 4, v[40:41]
	v_add_co_u32_e32 v37, vcc, v2, v0
	v_addc_co_u32_e32 v38, vcc, v3, v1, vcc
	v_add_co_u32_e32 v44, vcc, 0x1000, v37
	global_load_dwordx4 v[0:3], v[37:38], off
	global_load_dwordx4 v[4:7], v[37:38], off offset:528
	v_addc_co_u32_e32 v45, vcc, 0, v38, vcc
	global_load_dwordx4 v[32:35], v[37:38], off offset:1056
	global_load_dwordx4 v[24:27], v[37:38], off offset:1584
	;; [unrolled: 1-line block ×7, first 2 shown]
.LBB0_10:
	s_or_b64 exec, exec, s[4:5]
	s_waitcnt vmcnt(0)
	v_add_f64 v[37:38], v[28:29], v[4:5]
	v_add_f64 v[46:47], v[20:21], v[32:33]
	;; [unrolled: 1-line block ×4, first 2 shown]
	v_add_f64 v[4:5], v[4:5], -v[28:29]
	v_add_f64 v[28:29], v[16:17], v[24:25]
	v_add_f64 v[50:51], v[18:19], v[26:27]
	v_add_f64 v[18:19], v[26:27], -v[18:19]
	v_add_f64 v[6:7], v[6:7], -v[30:31]
	v_add_f64 v[52:53], v[46:47], v[37:38]
	s_mov_b32 s11, 0x3fe491b7
	v_add_f64 v[54:55], v[48:49], v[44:45]
	s_mov_b32 s10, 0x523c161c
	v_add_f64 v[20:21], v[32:33], -v[20:21]
	v_add_f64 v[22:23], v[34:35], -v[22:23]
	v_add_f64 v[16:17], v[24:25], -v[16:17]
	v_add_f64 v[24:25], v[12:13], -v[8:9]
	v_add_f64 v[26:27], v[28:29], v[52:53]
	v_add_f64 v[34:35], v[8:9], v[12:13]
	;; [unrolled: 1-line block ×3, first 2 shown]
	s_mov_b32 s12, 0x8c811c17
	v_add_f64 v[32:33], v[14:15], -v[10:11]
	v_add_f64 v[56:57], v[10:11], v[14:15]
	s_mov_b32 s13, 0x3fef838b
	s_mov_b32 s4, 0x24924925
	v_add_f64 v[12:13], v[12:13], v[26:27]
	v_mul_f64 v[26:27], v[4:5], s[10:11]
	v_add_f64 v[14:15], v[14:15], v[30:31]
	v_mul_f64 v[30:31], v[6:7], s[10:11]
	s_mov_b32 s11, 0xbfe491b7
	v_mul_f64 v[58:59], v[24:25], s[10:11]
	v_mul_hi_u32 v39, v36, s4
	s_mov_b32 s5, 0x3febb67a
	v_add_f64 v[8:9], v[8:9], v[12:13]
	v_fma_f64 v[12:13], v[20:21], s[12:13], v[26:27]
	v_sub_u32_e32 v41, v36, v39
	v_add_f64 v[10:11], v[10:11], v[14:15]
	v_lshrrev_b32_e32 v14, 1, v41
	s_mov_b32 s4, 0xe8584cab
	v_add_u32_e32 v26, v14, v39
	v_fma_f64 v[14:15], v[4:5], s[12:13], v[58:59]
	v_lshrrev_b32_e32 v26, 2, v26
	v_fma_f64 v[12:13], v[16:17], s[4:5], v[12:13]
	v_mul_lo_u32 v26, v26, 7
	s_mov_b32 s14, 0x748a0bf8
	s_mov_b32 s7, 0xbfebb67a
	;; [unrolled: 1-line block ×4, first 2 shown]
	v_fma_f64 v[14:15], v[16:17], s[6:7], v[14:15]
	v_sub_u32_e32 v36, v36, v26
	v_mul_f64 v[26:27], v[32:33], s[10:11]
	v_add_f64 v[58:59], v[24:25], v[4:5]
	v_mul_f64 v[60:61], v[24:25], s[12:13]
	v_fma_f64 v[12:13], v[24:25], s[14:15], v[12:13]
	v_fma_f64 v[24:25], v[22:23], s[12:13], v[30:31]
	s_mov_b32 s16, 0xa2cf5039
	s_mov_b32 s17, 0x3fe8836f
	v_fma_f64 v[14:15], v[20:21], s[14:15], v[14:15]
	v_fma_f64 v[26:27], v[6:7], s[12:13], v[26:27]
	v_add_f64 v[30:31], v[58:59], -v[20:21]
	v_fma_f64 v[20:21], v[20:21], s[10:11], -v[60:61]
	v_fma_f64 v[58:59], v[34:35], s[16:17], v[0:1]
	v_fma_f64 v[60:61], v[37:38], s[16:17], v[0:1]
	;; [unrolled: 1-line block ×3, first 2 shown]
	v_mul_f64 v[64:65], v[32:33], s[12:13]
	s_mov_b32 s12, 0x7e0b738b
	s_mov_b32 s13, 0x3fc63a1a
	v_fma_f64 v[26:27], v[18:19], s[6:7], v[26:27]
	v_add_f64 v[62:63], v[32:33], v[6:7]
	v_fma_f64 v[58:59], v[37:38], s[12:13], v[58:59]
	v_fma_f64 v[60:61], v[46:47], s[12:13], v[60:61]
	;; [unrolled: 1-line block ×7, first 2 shown]
	v_add_f64 v[62:63], v[62:63], -v[22:23]
	v_fma_f64 v[22:23], v[22:23], s[10:11], -v[64:65]
	v_fma_f64 v[58:59], v[28:29], -0.5, v[58:59]
	v_fma_f64 v[60:61], v[28:29], -0.5, v[60:61]
	v_fma_f64 v[64:65], v[46:47], s[16:17], v[0:1]
	v_fma_f64 v[32:33], v[44:45], s[12:13], v[32:33]
	;; [unrolled: 1-line block ×3, first 2 shown]
	s_mov_b32 s10, 0x42522d1b
	s_mov_b32 s11, 0xbfee11f6
	v_add_f64 v[52:53], v[34:35], v[52:53]
	v_fma_f64 v[46:47], v[46:47], s[10:11], v[58:59]
	v_fma_f64 v[58:59], v[34:35], s[10:11], v[60:61]
	;; [unrolled: 1-line block ×3, first 2 shown]
	v_fma_f64 v[32:33], v[50:51], -0.5, v[32:33]
	v_fma_f64 v[60:61], v[56:57], s[12:13], v[68:69]
	v_fma_f64 v[64:65], v[50:51], -0.5, v[66:67]
	v_add_f64 v[66:67], v[28:29], v[0:1]
	v_fma_f64 v[16:17], v[16:17], s[4:5], v[20:21]
	v_fma_f64 v[18:19], v[18:19], s[4:5], v[22:23]
	v_add_f64 v[54:55], v[56:57], v[54:55]
	v_fma_f64 v[20:21], v[28:29], -0.5, v[34:35]
	v_fma_f64 v[28:29], v[48:49], s[10:11], v[32:33]
	v_fma_f64 v[22:23], v[50:51], -0.5, v[60:61]
	v_fma_f64 v[32:33], v[56:57], s[10:11], v[64:65]
	v_add_f64 v[68:69], v[50:51], v[2:3]
	v_fma_f64 v[34:35], v[52:53], -0.5, v[66:67]
	v_fma_f64 v[4:5], v[4:5], s[14:15], v[16:17]
	v_fma_f64 v[6:7], v[6:7], s[14:15], v[18:19]
	;; [unrolled: 1-line block ×3, first 2 shown]
	v_mul_u32_u24_e32 v41, 0x129, v36
	v_fma_f64 v[18:19], v[44:45], s[10:11], v[22:23]
	v_add_f64 v[22:23], v[32:33], -v[12:13]
	v_fma_f64 v[48:49], v[54:55], -0.5, v[68:69]
	v_add_f64 v[28:29], v[28:29], -v[14:15]
	v_fma_f64 v[34:35], v[62:63], s[4:5], v[34:35]
	v_mul_f64 v[36:37], v[62:63], s[4:5]
	v_add_f64 v[32:33], v[26:27], v[46:47]
	v_add_f64 v[20:21], v[24:25], v[58:59]
	;; [unrolled: 1-line block ×3, first 2 shown]
	v_fma_f64 v[44:45], v[12:13], 2.0, v[22:23]
	v_add_f64 v[12:13], v[6:7], v[16:17]
	v_add_f64 v[17:18], v[18:19], -v[4:5]
	v_fma_f64 v[38:39], v[30:31], s[6:7], v[48:49]
	v_mul_f64 v[30:31], v[30:31], s[4:5]
	v_fma_f64 v[46:47], v[14:15], 2.0, v[28:29]
	v_fma_f64 v[14:15], v[36:37], -2.0, v[34:35]
	v_add_f64 v[36:37], v[2:3], v[10:11]
	v_fma_f64 v[26:27], v[26:27], -2.0, v[32:33]
	v_fma_f64 v[2:3], v[6:7], -2.0, v[12:13]
	v_fma_f64 v[24:25], v[24:25], -2.0, v[20:21]
	v_fma_f64 v[48:49], v[4:5], 2.0, v[17:18]
	v_lshlrev_b32_e32 v75, 3, v41
	v_fma_f64 v[30:31], v[30:31], 2.0, v[38:39]
	v_add_u32_e32 v4, 0, v75
	s_movk_i32 s4, 0x48
	v_mad_u32_u24 v19, v40, s4, v4
	ds_write2_b64 v19, v[0:1], v[20:21] offset1:1
	ds_write2_b64 v19, v[32:33], v[34:35] offset0:2 offset1:3
	ds_write2_b64 v19, v[12:13], v[2:3] offset0:4 offset1:5
	;; [unrolled: 1-line block ×3, first 2 shown]
	ds_write_b64 v19, v[24:25] offset:64
	v_lshlrev_b32_e32 v0, 6, v40
	v_sub_u32_e32 v41, v19, v0
	v_lshl_add_u32 v58, v40, 3, v4
	v_add_u32_e32 v16, 0x400, v41
	v_mov_b32_e32 v21, 57
	s_waitcnt lgkmcnt(0)
	s_barrier
	ds_read_b64 v[56:57], v58
	ds_read2_b64 v[0:3], v41 offset0:99 offset1:132
	ds_read2_b64 v[4:7], v41 offset0:165 offset1:198
	;; [unrolled: 1-line block ×4, first 2 shown]
	s_waitcnt lgkmcnt(0)
	s_barrier
	ds_write2_b64 v19, v[36:37], v[22:23] offset1:1
	ds_write2_b64 v19, v[28:29], v[38:39] offset0:2 offset1:3
	ds_write2_b64 v19, v[17:18], v[48:49] offset0:4 offset1:5
	;; [unrolled: 1-line block ×3, first 2 shown]
	ds_write_b64 v19, v[44:45] offset:64
	v_mul_lo_u16_sdwa v17, v40, v21 dst_sel:DWORD dst_unused:UNUSED_PAD src0_sel:BYTE_0 src1_sel:DWORD
	v_lshrrev_b16_e32 v76, 9, v17
	v_mul_lo_u16_e32 v17, 9, v76
	v_sub_u16_e32 v77, v40, v17
	v_add_u16_e32 v17, 33, v40
	v_mul_lo_u16_sdwa v18, v17, v21 dst_sel:DWORD dst_unused:UNUSED_PAD src0_sel:BYTE_0 src1_sel:DWORD
	v_lshrrev_b16_e32 v78, 9, v18
	v_mul_lo_u16_e32 v18, 9, v78
	v_mov_b32_e32 v22, 5
	v_sub_u16_e32 v79, v17, v18
	v_lshlrev_b32_sdwa v24, v22, v79 dst_sel:DWORD dst_unused:UNUSED_PAD src0_sel:DWORD src1_sel:BYTE_0
	s_waitcnt lgkmcnt(0)
	s_barrier
	v_lshlrev_b32_sdwa v23, v22, v77 dst_sel:DWORD dst_unused:UNUSED_PAD src0_sel:DWORD src1_sel:BYTE_0
	global_load_dwordx4 v[30:33], v24, s[8:9]
	global_load_dwordx4 v[17:20], v23, s[8:9]
	global_load_dwordx4 v[44:47], v23, s[8:9] offset:16
	v_add_u16_e32 v23, 0x42, v40
	v_mul_lo_u16_sdwa v21, v23, v21 dst_sel:DWORD dst_unused:UNUSED_PAD src0_sel:BYTE_0 src1_sel:DWORD
	v_lshrrev_b16_e32 v80, 9, v21
	v_mul_lo_u16_e32 v21, 9, v80
	v_sub_u16_e32 v81, v23, v21
	v_lshlrev_b32_sdwa v21, v22, v81 dst_sel:DWORD dst_unused:UNUSED_PAD src0_sel:DWORD src1_sel:BYTE_0
	global_load_dwordx4 v[48:51], v21, s[8:9]
	global_load_dwordx4 v[52:55], v21, s[8:9] offset:16
	global_load_dwordx4 v[59:62], v24, s[8:9] offset:16
	ds_read2_b64 v[63:66], v41 offset0:99 offset1:132
	ds_read2_b64 v[67:70], v41 offset0:165 offset1:198
	ds_read2_b64 v[71:74], v16 offset0:103 offset1:136
	s_mov_b32 s4, 0xe8584caa
	s_mov_b32 s6, s4
	s_movk_i32 s10, 0xd8
	v_cmp_gt_u32_e32 vcc, 27, v40
	s_waitcnt vmcnt(5) lgkmcnt(2)
	v_mul_f64 v[25:26], v[65:66], v[32:33]
	s_waitcnt vmcnt(4)
	v_mul_f64 v[21:22], v[63:64], v[19:20]
	v_mul_f64 v[23:24], v[0:1], v[19:20]
	s_waitcnt vmcnt(3) lgkmcnt(1)
	v_mul_f64 v[28:29], v[69:70], v[46:47]
	v_mad_u32_u24 v19, v76, s10, 0
	s_waitcnt vmcnt(2)
	v_mul_f64 v[34:35], v[67:68], v[50:51]
	v_fma_f64 v[26:27], v[2:3], v[30:31], -v[25:26]
	v_fma_f64 v[20:21], v[0:1], v[17:18], -v[21:22]
	s_waitcnt vmcnt(1) lgkmcnt(0)
	v_mul_f64 v[0:1], v[73:74], v[54:55]
	v_fma_f64 v[22:23], v[63:64], v[17:18], v[23:24]
	s_waitcnt vmcnt(0)
	v_mul_f64 v[17:18], v[71:72], v[61:62]
	v_fma_f64 v[24:25], v[6:7], v[44:45], -v[28:29]
	v_mul_f64 v[6:7], v[6:7], v[46:47]
	v_fma_f64 v[34:35], v[4:5], v[48:49], -v[34:35]
	v_mul_f64 v[4:5], v[4:5], v[50:51]
	v_mul_f64 v[2:3], v[2:3], v[32:33]
	v_fma_f64 v[36:37], v[14:15], v[52:53], -v[0:1]
	v_mul_f64 v[0:1], v[14:15], v[54:55]
	v_fma_f64 v[28:29], v[12:13], v[59:60], -v[17:18]
	v_mul_f64 v[12:13], v[12:13], v[61:62]
	v_add_f64 v[14:15], v[20:21], v[24:25]
	v_fma_f64 v[50:51], v[69:70], v[44:45], v[6:7]
	v_fma_f64 v[38:39], v[67:68], v[48:49], v[4:5]
	v_add_f64 v[32:33], v[10:11], v[34:35]
	v_add_f64 v[4:5], v[34:35], v[36:37]
	v_fma_f64 v[48:49], v[73:74], v[52:53], v[0:1]
	v_add_f64 v[0:1], v[26:27], v[28:29]
	v_fma_f64 v[52:53], v[65:66], v[30:31], v[2:3]
	v_fma_f64 v[54:55], v[71:72], v[59:60], v[12:13]
	v_fma_f64 v[2:3], v[14:15], -0.5, v[56:57]
	v_add_f64 v[6:7], v[22:23], -v[50:51]
	v_fma_f64 v[12:13], v[4:5], -0.5, v[10:11]
	v_add_f64 v[14:15], v[38:39], -v[48:49]
	v_fma_f64 v[17:18], v[0:1], -0.5, v[8:9]
	v_add_f64 v[8:9], v[8:9], v[26:27]
	v_add_f64 v[30:31], v[52:53], -v[54:55]
	v_fma_f64 v[0:1], v[6:7], s[4:5], v[2:3]
	v_fma_f64 v[2:3], v[6:7], s[6:7], v[2:3]
	;; [unrolled: 1-line block ×4, first 2 shown]
	v_add_f64 v[8:9], v[8:9], v[28:29]
	v_fma_f64 v[10:11], v[30:31], s[4:5], v[17:18]
	v_fma_f64 v[12:13], v[30:31], s[6:7], v[17:18]
	v_add_f64 v[17:18], v[56:57], v[20:21]
	v_add_f64 v[14:15], v[32:33], v[36:37]
	v_mov_b32_e32 v30, 3
	v_lshlrev_b32_sdwa v31, v30, v77 dst_sel:DWORD dst_unused:UNUSED_PAD src0_sel:DWORD src1_sel:BYTE_0
	v_add3_u32 v59, v19, v31, v75
	v_mad_u32_u24 v19, v78, s10, 0
	v_lshlrev_b32_sdwa v31, v30, v79 dst_sel:DWORD dst_unused:UNUSED_PAD src0_sel:DWORD src1_sel:BYTE_0
	v_add3_u32 v60, v19, v31, v75
	v_add_f64 v[44:45], v[17:18], v[24:25]
	v_lshlrev_b32_sdwa v19, v30, v81 dst_sel:DWORD dst_unused:UNUSED_PAD src0_sel:DWORD src1_sel:BYTE_0
	ds_read_b64 v[56:57], v58
	ds_read2_b64 v[30:33], v41 offset0:33 offset1:66
	v_mad_u32_u24 v17, v80, s10, 0
	v_add3_u32 v61, v17, v19, v75
	s_waitcnt lgkmcnt(0)
	s_barrier
	ds_write2_b64 v59, v[44:45], v[0:1] offset1:9
	ds_write_b64 v59, v[2:3] offset:144
	ds_write2_b64 v60, v[8:9], v[10:11] offset1:9
	ds_write_b64 v60, v[12:13] offset:144
	;; [unrolled: 2-line block ×3, first 2 shown]
	s_waitcnt lgkmcnt(0)
	s_barrier
	s_waitcnt lgkmcnt(0)
                                        ; implicit-def: $vgpr18_vgpr19
	s_and_saveexec_b64 s[10:11], vcc
	s_cbranch_execz .LBB0_12
; %bb.11:
	ds_read_b64 v[44:45], v58
	ds_read2_b64 v[0:3], v41 offset0:27 offset1:54
	ds_read2_b64 v[8:11], v41 offset0:81 offset1:108
	;; [unrolled: 1-line block ×5, first 2 shown]
.LBB0_12:
	s_or_b64 exec, exec, s[10:11]
	v_add_f64 v[46:47], v[56:57], v[22:23]
	v_add_f64 v[22:23], v[22:23], v[50:51]
	v_add_f64 v[24:25], v[20:21], -v[24:25]
	v_add_f64 v[28:29], v[26:27], -v[28:29]
	;; [unrolled: 1-line block ×3, first 2 shown]
	s_waitcnt lgkmcnt(0)
	s_barrier
	v_add_f64 v[46:47], v[46:47], v[50:51]
	v_fma_f64 v[22:23], v[22:23], -0.5, v[56:57]
	v_add_f64 v[50:51], v[52:53], v[54:55]
	v_fma_f64 v[20:21], v[24:25], s[6:7], v[22:23]
	v_fma_f64 v[22:23], v[24:25], s[4:5], v[22:23]
	v_add_f64 v[24:25], v[30:31], v[52:53]
	v_fma_f64 v[30:31], v[50:51], -0.5, v[30:31]
	v_add_f64 v[24:25], v[24:25], v[54:55]
	v_fma_f64 v[26:27], v[28:29], s[6:7], v[30:31]
	v_fma_f64 v[28:29], v[28:29], s[4:5], v[30:31]
	v_add_f64 v[30:31], v[32:33], v[38:39]
	v_add_f64 v[38:39], v[38:39], v[48:49]
	;; [unrolled: 1-line block ×3, first 2 shown]
	v_fma_f64 v[38:39], v[38:39], -0.5, v[32:33]
	v_fma_f64 v[32:33], v[34:35], s[6:7], v[38:39]
	v_fma_f64 v[34:35], v[34:35], s[4:5], v[38:39]
	ds_write2_b64 v59, v[46:47], v[20:21] offset1:9
	ds_write_b64 v59, v[22:23] offset:144
	ds_write2_b64 v60, v[24:25], v[26:27] offset1:9
	ds_write_b64 v60, v[28:29] offset:144
	;; [unrolled: 2-line block ×3, first 2 shown]
	s_waitcnt lgkmcnt(0)
	s_barrier
	s_waitcnt lgkmcnt(0)
                                        ; implicit-def: $vgpr38_vgpr39
	s_and_saveexec_b64 s[4:5], vcc
	s_cbranch_execnz .LBB0_15
; %bb.13:
	s_or_b64 exec, exec, s[4:5]
	s_and_b64 s[0:1], s[0:1], vcc
	s_and_saveexec_b64 s[4:5], s[0:1]
	s_cbranch_execnz .LBB0_16
.LBB0_14:
	s_endpgm
.LBB0_15:
	ds_read_b64 v[46:47], v58
	ds_read2_b64 v[20:23], v41 offset0:27 offset1:54
	ds_read2_b64 v[24:27], v41 offset0:81 offset1:108
	;; [unrolled: 1-line block ×4, first 2 shown]
	v_add_u32_e32 v36, 0x400, v41
	ds_read2_b64 v[36:39], v36 offset0:115 offset1:142
	s_or_b64 exec, exec, s[4:5]
	s_and_b64 s[0:1], s[0:1], vcc
	s_and_saveexec_b64 s[4:5], s[0:1]
	s_cbranch_execz .LBB0_14
.LBB0_16:
	v_mul_u32_u24_e32 v41, 10, v40
	v_lshlrev_b32_e32 v41, 4, v41
	global_load_dwordx4 v[48:51], v41, s[8:9] offset:352
	global_load_dwordx4 v[52:55], v41, s[8:9] offset:368
	;; [unrolled: 1-line block ×10, first 2 shown]
	s_mov_b32 s0, 0x9bcd5057
	s_mov_b32 s1, 0xbfeeb42a
	;; [unrolled: 1-line block ×30, first 2 shown]
	v_mov_b32_e32 v41, 0
	s_waitcnt vmcnt(9) lgkmcnt(2)
	v_mul_f64 v[66:67], v[28:29], v[50:51]
	s_waitcnt vmcnt(8)
	v_mul_f64 v[70:71], v[30:31], v[54:55]
	s_waitcnt vmcnt(7)
	;; [unrolled: 2-line block ×3, first 2 shown]
	v_mul_f64 v[86:87], v[24:25], v[60:61]
	v_mul_f64 v[24:25], v[24:25], v[62:63]
	;; [unrolled: 1-line block ×3, first 2 shown]
	s_waitcnt vmcnt(3)
	v_mul_f64 v[88:89], v[22:23], v[76:77]
	s_waitcnt vmcnt(2)
	v_mul_f64 v[108:109], v[20:21], v[82:83]
	s_waitcnt vmcnt(1) lgkmcnt(0)
	v_mul_f64 v[112:113], v[38:39], v[94:95]
	v_mul_f64 v[68:69], v[30:31], v[52:53]
	;; [unrolled: 1-line block ×5, first 2 shown]
	s_waitcnt vmcnt(0)
	v_mul_f64 v[114:115], v[36:37], v[98:99]
	v_mul_f64 v[38:39], v[38:39], v[96:97]
	v_fma_f64 v[30:31], v[12:13], v[48:49], -v[66:67]
	v_fma_f64 v[22:23], v[14:15], v[52:53], -v[70:71]
	v_fma_f64 v[58:59], v[10:11], v[58:59], v[80:81]
	v_fma_f64 v[70:71], v[8:9], v[62:63], v[86:87]
	v_fma_f64 v[66:67], v[8:9], v[60:61], -v[24:25]
	v_fma_f64 v[80:81], v[2:3], v[78:79], v[88:89]
	v_fma_f64 v[88:89], v[0:1], v[84:85], v[108:109]
	;; [unrolled: 1-line block ×3, first 2 shown]
	v_mul_f64 v[102:103], v[32:33], v[72:73]
	v_mul_f64 v[32:33], v[32:33], v[74:75]
	;; [unrolled: 1-line block ×4, first 2 shown]
	v_fma_f64 v[28:29], v[12:13], v[50:51], v[64:65]
	v_fma_f64 v[56:57], v[10:11], v[56:57], -v[26:27]
	v_fma_f64 v[84:85], v[0:1], v[82:83], -v[110:111]
	;; [unrolled: 1-line block ×3, first 2 shown]
	v_fma_f64 v[12:13], v[16:17], v[100:101], v[114:115]
	v_add_f64 v[94:95], v[88:89], v[8:9]
	v_mul_f64 v[34:35], v[34:35], v[92:93]
	v_fma_f64 v[20:21], v[14:15], v[54:55], v[68:69]
	v_fma_f64 v[76:77], v[2:3], v[76:77], -v[106:107]
	v_fma_f64 v[14:15], v[16:17], v[98:99], -v[36:37]
	;; [unrolled: 1-line block ×3, first 2 shown]
	v_fma_f64 v[16:17], v[6:7], v[92:93], v[104:105]
	v_add_f64 v[72:73], v[84:85], -v[10:11]
	v_add_f64 v[92:93], v[80:81], v[12:13]
	v_add_f64 v[86:87], v[88:89], -v[8:9]
	v_mul_f64 v[0:1], v[94:95], s[0:1]
	v_fma_f64 v[24:25], v[4:5], v[74:75], v[102:103]
	v_fma_f64 v[18:19], v[6:7], v[90:91], -v[34:35]
	v_add_f64 v[60:61], v[76:77], -v[14:15]
	v_add_f64 v[64:65], v[84:85], v[10:11]
	v_add_f64 v[82:83], v[80:81], -v[12:13]
	v_add_f64 v[90:91], v[70:71], v[16:17]
	v_mul_f64 v[2:3], v[86:87], s[8:9]
	v_mul_f64 v[4:5], v[92:93], s[6:7]
	v_fma_f64 v[112:113], v[72:73], s[4:5], v[0:1]
	v_add_f64 v[62:63], v[76:77], v[14:15]
	v_add_f64 v[54:55], v[66:67], -v[18:19]
	v_add_f64 v[78:79], v[70:71], -v[16:17]
	v_add_f64 v[74:75], v[58:59], v[24:25]
	v_mul_f64 v[6:7], v[82:83], s[16:17]
	v_mul_f64 v[96:97], v[90:91], s[12:13]
	v_fma_f64 v[116:117], v[64:65], s[0:1], v[2:3]
	v_fma_f64 v[0:1], v[72:73], s[8:9], v[0:1]
	;; [unrolled: 1-line block ×3, first 2 shown]
	v_fma_f64 v[2:3], v[64:65], s[0:1], -v[2:3]
	v_add_f64 v[112:113], v[46:47], v[112:113]
	v_add_f64 v[50:51], v[66:67], v[18:19]
	v_add_f64 v[38:39], v[56:57], -v[26:27]
	v_add_f64 v[68:69], v[58:59], -v[24:25]
	v_add_f64 v[52:53], v[28:29], v[20:21]
	v_mul_f64 v[98:99], v[78:79], s[14:15]
	v_mul_f64 v[100:101], v[74:75], s[20:21]
	;; [unrolled: 1-line block ×3, first 2 shown]
	v_fma_f64 v[120:121], v[62:63], s[6:7], v[6:7]
	v_fma_f64 v[4:5], v[60:61], s[16:17], v[4:5]
	v_fma_f64 v[6:7], v[62:63], s[6:7], -v[6:7]
	v_fma_f64 v[122:123], v[54:55], s[18:19], v[96:97]
	v_add_f64 v[116:117], v[44:45], v[116:117]
	v_add_f64 v[0:1], v[46:47], v[0:1]
	;; [unrolled: 1-line block ×5, first 2 shown]
	v_add_f64 v[32:33], v[30:31], -v[22:23]
	v_add_f64 v[48:49], v[28:29], -v[20:21]
	v_mul_f64 v[102:103], v[68:69], s[30:31]
	v_mul_f64 v[104:105], v[52:53], s[22:23]
	v_mul_f64 v[110:111], v[92:93], s[22:23]
	v_mul_f64 v[114:115], v[86:87], s[14:15]
	v_fma_f64 v[124:125], v[50:51], s[12:13], v[98:99]
	v_fma_f64 v[96:97], v[54:55], s[14:15], v[96:97]
	v_fma_f64 v[98:99], v[50:51], s[12:13], -v[98:99]
	v_fma_f64 v[118:119], v[38:39], s[24:25], v[100:101]
	v_add_f64 v[116:117], v[120:121], v[116:117]
	v_add_f64 v[0:1], v[4:5], v[0:1]
	;; [unrolled: 1-line block ×4, first 2 shown]
	v_fma_f64 v[6:7], v[72:73], s[18:19], v[108:109]
	v_add_f64 v[36:37], v[30:31], v[22:23]
	v_mul_f64 v[106:107], v[48:49], s[26:27]
	v_fma_f64 v[126:127], v[34:35], s[20:21], v[102:103]
	v_fma_f64 v[112:113], v[32:33], s[28:29], v[104:105]
	v_add_f64 v[116:117], v[124:125], v[116:117]
	v_fma_f64 v[102:103], v[34:35], s[20:21], -v[102:103]
	v_add_f64 v[0:1], v[96:97], v[0:1]
	v_add_f64 v[2:3], v[98:99], v[2:3]
	;; [unrolled: 1-line block ×3, first 2 shown]
	v_fma_f64 v[96:97], v[60:61], s[26:27], v[110:111]
	v_add_f64 v[6:7], v[46:47], v[6:7]
	v_mul_f64 v[98:99], v[90:91], s[6:7]
	v_fma_f64 v[118:119], v[64:65], s[12:13], v[114:115]
	v_mul_f64 v[122:123], v[82:83], s[28:29]
	v_fma_f64 v[100:101], v[38:39], s[30:31], v[100:101]
	v_fma_f64 v[120:121], v[36:37], s[22:23], v[106:107]
	v_add_f64 v[116:117], v[126:127], v[116:117]
	v_add_f64 v[102:103], v[102:103], v[2:3]
	;; [unrolled: 1-line block ×3, first 2 shown]
	v_fma_f64 v[96:97], v[54:55], s[16:17], v[98:99]
	v_mul_f64 v[124:125], v[74:75], s[0:1]
	v_add_f64 v[118:119], v[44:45], v[118:119]
	v_fma_f64 v[126:127], v[62:63], s[22:23], v[122:123]
	v_add_f64 v[2:3], v[112:113], v[4:5]
	v_mul_f64 v[112:113], v[78:79], s[10:11]
	v_add_f64 v[100:101], v[100:101], v[0:1]
	v_fma_f64 v[104:105], v[32:33], s[26:27], v[104:105]
	v_add_f64 v[0:1], v[120:121], v[116:117]
	v_fma_f64 v[4:5], v[36:37], s[22:23], -v[106:107]
	v_fma_f64 v[106:107], v[72:73], s[14:15], v[108:109]
	v_add_f64 v[96:97], v[96:97], v[6:7]
	v_fma_f64 v[108:109], v[38:39], s[4:5], v[124:125]
	v_add_f64 v[116:117], v[126:127], v[118:119]
	v_fma_f64 v[114:115], v[64:65], s[12:13], -v[114:115]
	v_fma_f64 v[118:119], v[50:51], s[6:7], v[112:113]
	v_mul_f64 v[120:121], v[68:69], s[8:9]
	v_fma_f64 v[110:111], v[60:61], s[28:29], v[110:111]
	v_add_f64 v[106:107], v[46:47], v[106:107]
	v_add_f64 v[6:7], v[104:105], v[100:101]
	;; [unrolled: 1-line block ×3, first 2 shown]
	v_fma_f64 v[100:101], v[62:63], s[22:23], -v[122:123]
	v_add_f64 v[102:103], v[44:45], v[114:115]
	v_add_f64 v[96:97], v[108:109], v[96:97]
	;; [unrolled: 1-line block ×3, first 2 shown]
	v_fma_f64 v[108:109], v[34:35], s[0:1], v[120:121]
	v_mul_f64 v[114:115], v[94:95], s[22:23]
	v_add_f64 v[106:107], v[110:111], v[106:107]
	v_fma_f64 v[98:99], v[54:55], s[10:11], v[98:99]
	v_mul_f64 v[110:111], v[52:53], s[20:21]
	v_add_f64 v[100:101], v[100:101], v[102:103]
	v_fma_f64 v[102:103], v[50:51], s[6:7], -v[112:113]
	v_mul_f64 v[118:119], v[92:93], s[0:1]
	v_add_f64 v[104:105], v[108:109], v[104:105]
	v_mul_f64 v[108:109], v[86:87], s[26:27]
	v_fma_f64 v[116:117], v[72:73], s[28:29], v[114:115]
	v_mul_f64 v[112:113], v[48:49], s[30:31]
	v_add_f64 v[106:107], v[98:99], v[106:107]
	v_fma_f64 v[98:99], v[32:33], s[24:25], v[110:111]
	v_add_f64 v[100:101], v[102:103], v[100:101]
	v_fma_f64 v[122:123], v[38:39], s[8:9], v[124:125]
	v_mul_f64 v[126:127], v[82:83], s[4:5]
	v_fma_f64 v[124:125], v[64:65], s[22:23], v[108:109]
	v_fma_f64 v[120:121], v[34:35], s[0:1], -v[120:121]
	v_add_f64 v[116:117], v[46:47], v[116:117]
	v_fma_f64 v[128:129], v[60:61], s[8:9], v[118:119]
	v_mul_f64 v[130:131], v[90:91], s[20:21]
	v_fma_f64 v[102:103], v[36:37], s[20:21], v[112:113]
	v_add_f64 v[98:99], v[98:99], v[96:97]
	v_add_f64 v[106:107], v[122:123], v[106:107]
	;; [unrolled: 1-line block ×3, first 2 shown]
	v_fma_f64 v[122:123], v[62:63], s[0:1], v[126:127]
	v_mul_f64 v[124:125], v[78:79], s[30:31]
	v_add_f64 v[100:101], v[120:121], v[100:101]
	v_add_f64 v[116:117], v[128:129], v[116:117]
	v_fma_f64 v[120:121], v[54:55], s[24:25], v[130:131]
	v_mul_f64 v[128:129], v[74:75], s[6:7]
	v_fma_f64 v[110:111], v[32:33], s[30:31], v[110:111]
	v_fma_f64 v[112:113], v[36:37], s[20:21], -v[112:113]
	v_add_f64 v[122:123], v[122:123], v[96:97]
	v_fma_f64 v[132:133], v[50:51], s[20:21], v[124:125]
	v_add_f64 v[96:97], v[102:103], v[104:105]
	v_mul_f64 v[134:135], v[68:69], s[10:11]
	v_add_f64 v[104:105], v[120:121], v[116:117]
	v_fma_f64 v[116:117], v[38:39], s[16:17], v[128:129]
	v_add_f64 v[102:103], v[110:111], v[106:107]
	v_mul_f64 v[110:111], v[52:53], s[12:13]
	v_add_f64 v[100:101], v[112:113], v[100:101]
	v_fma_f64 v[112:113], v[72:73], s[26:27], v[114:115]
	v_add_f64 v[106:107], v[132:133], v[122:123]
	v_fma_f64 v[114:115], v[34:35], s[6:7], v[134:135]
	v_mul_f64 v[120:121], v[48:49], s[14:15]
	v_add_f64 v[104:105], v[116:117], v[104:105]
	v_fma_f64 v[108:109], v[64:65], s[22:23], -v[108:109]
	v_fma_f64 v[116:117], v[32:33], s[18:19], v[110:111]
	v_mul_f64 v[122:123], v[94:95], s[20:21]
	v_fma_f64 v[118:119], v[60:61], s[4:5], v[118:119]
	v_add_f64 v[112:113], v[46:47], v[112:113]
	v_add_f64 v[114:115], v[114:115], v[106:107]
	v_fma_f64 v[132:133], v[36:37], s[12:13], v[120:121]
	v_fma_f64 v[126:127], v[62:63], s[0:1], -v[126:127]
	v_add_f64 v[108:109], v[44:45], v[108:109]
	v_add_f64 v[106:107], v[116:117], v[104:105]
	v_fma_f64 v[116:117], v[72:73], s[30:31], v[122:123]
	v_mul_f64 v[136:137], v[92:93], s[12:13]
	v_add_f64 v[112:113], v[118:119], v[112:113]
	v_fma_f64 v[118:119], v[54:55], s[30:31], v[130:131]
	v_mul_f64 v[130:131], v[86:87], s[24:25]
	v_add_f64 v[104:105], v[132:133], v[114:115]
	v_add_f64 v[108:109], v[126:127], v[108:109]
	v_fma_f64 v[114:115], v[50:51], s[20:21], -v[124:125]
	v_add_f64 v[116:117], v[46:47], v[116:117]
	v_fma_f64 v[124:125], v[60:61], s[18:19], v[136:137]
	v_mul_f64 v[126:127], v[90:91], s[0:1]
	v_add_f64 v[112:113], v[118:119], v[112:113]
	v_fma_f64 v[118:119], v[64:65], s[20:21], v[130:131]
	v_mul_f64 v[132:133], v[82:83], s[14:15]
	v_fma_f64 v[128:129], v[38:39], s[10:11], v[128:129]
	v_add_f64 v[108:109], v[114:115], v[108:109]
	v_fma_f64 v[114:115], v[34:35], s[6:7], -v[134:135]
	v_add_f64 v[116:117], v[124:125], v[116:117]
	v_fma_f64 v[124:125], v[54:55], s[8:9], v[126:127]
	v_mul_f64 v[134:135], v[74:75], s[22:23]
	v_add_f64 v[118:119], v[44:45], v[118:119]
	v_fma_f64 v[138:139], v[62:63], s[12:13], v[132:133]
	v_mul_f64 v[140:141], v[78:79], s[4:5]
	v_add_f64 v[112:113], v[128:129], v[112:113]
	v_add_f64 v[108:109], v[114:115], v[108:109]
	v_fma_f64 v[110:111], v[32:33], s[14:15], v[110:111]
	v_add_f64 v[114:115], v[124:125], v[116:117]
	v_fma_f64 v[116:117], v[38:39], s[26:27], v[134:135]
	v_mul_f64 v[128:129], v[68:69], s[28:29]
	v_add_f64 v[118:119], v[138:139], v[118:119]
	v_fma_f64 v[124:125], v[50:51], s[0:1], v[140:141]
	v_add_f64 v[88:89], v[46:47], v[88:89]
	v_add_f64 v[84:85], v[44:45], v[84:85]
	v_fma_f64 v[120:121], v[36:37], s[12:13], -v[120:121]
	v_add_f64 v[110:111], v[110:111], v[112:113]
	v_mul_f64 v[112:113], v[52:53], s[6:7]
	v_add_f64 v[114:115], v[116:117], v[114:115]
	v_mul_f64 v[94:95], v[94:95], s[6:7]
	v_add_f64 v[116:117], v[124:125], v[118:119]
	v_fma_f64 v[118:119], v[64:65], s[20:21], -v[130:131]
	v_fma_f64 v[124:125], v[34:35], s[22:23], v[128:129]
	v_add_f64 v[80:81], v[80:81], v[88:89]
	v_add_f64 v[76:77], v[76:77], v[84:85]
	v_fma_f64 v[130:131], v[32:33], s[10:11], v[112:113]
	v_fma_f64 v[132:133], v[62:63], s[12:13], -v[132:133]
	v_add_f64 v[108:109], v[120:121], v[108:109]
	v_fma_f64 v[120:121], v[72:73], s[16:17], v[94:95]
	v_add_f64 v[118:119], v[44:45], v[118:119]
	v_add_f64 v[116:117], v[124:125], v[116:117]
	v_mul_f64 v[124:125], v[92:93], s[20:21]
	v_add_f64 v[70:71], v[70:71], v[80:81]
	v_add_f64 v[66:67], v[66:67], v[76:77]
	v_fma_f64 v[122:123], v[72:73], s[24:25], v[122:123]
	v_add_f64 v[92:93], v[130:131], v[114:115]
	v_add_f64 v[120:121], v[46:47], v[120:121]
	;; [unrolled: 1-line block ×3, first 2 shown]
	v_mul_f64 v[132:133], v[90:91], s[22:23]
	v_fma_f64 v[130:131], v[60:61], s[30:31], v[124:125]
	v_mul_f64 v[86:87], v[86:87], s[10:11]
	v_add_f64 v[58:59], v[58:59], v[70:71]
	v_add_f64 v[56:57], v[56:57], v[66:67]
	v_fma_f64 v[136:137], v[60:61], s[14:15], v[136:137]
	v_add_f64 v[122:123], v[46:47], v[122:123]
	v_mul_f64 v[82:83], v[82:83], s[24:25]
	v_fma_f64 v[84:85], v[54:55], s[28:29], v[132:133]
	v_add_f64 v[88:89], v[130:131], v[120:121]
	v_fma_f64 v[120:121], v[64:65], s[6:7], v[86:87]
	v_fma_f64 v[72:73], v[72:73], s[10:11], v[94:95]
	v_fma_f64 v[64:65], v[64:65], s[6:7], -v[86:87]
	v_add_f64 v[28:29], v[28:29], v[58:59]
	v_add_f64 v[30:31], v[30:31], v[56:57]
	;; [unrolled: 1-line block ×3, first 2 shown]
	v_fma_f64 v[126:127], v[54:55], s[4:5], v[126:127]
	v_add_f64 v[76:77], v[84:85], v[88:89]
	v_add_f64 v[84:85], v[44:45], v[120:121]
	v_fma_f64 v[88:89], v[62:63], s[20:21], v[82:83]
	v_mul_f64 v[78:79], v[78:79], s[26:27]
	v_fma_f64 v[56:57], v[60:61], s[24:25], v[124:125]
	v_add_f64 v[46:47], v[46:47], v[72:73]
	v_fma_f64 v[62:63], v[62:63], s[20:21], -v[82:83]
	v_add_f64 v[44:45], v[44:45], v[64:65]
	v_add_f64 v[20:21], v[20:21], v[28:29]
	;; [unrolled: 1-line block ×4, first 2 shown]
	v_fma_f64 v[126:127], v[50:51], s[0:1], -v[140:141]
	v_mul_f64 v[70:71], v[74:75], s[12:13]
	v_add_f64 v[84:85], v[88:89], v[84:85]
	v_fma_f64 v[88:89], v[50:51], s[22:23], v[78:79]
	v_mul_f64 v[68:69], v[68:69], s[14:15]
	v_fma_f64 v[30:31], v[54:55], s[26:27], v[132:133]
	v_add_f64 v[46:47], v[56:57], v[46:47]
	v_fma_f64 v[50:51], v[50:51], s[22:23], -v[78:79]
	v_add_f64 v[44:45], v[62:63], v[44:45]
	v_add_f64 v[20:21], v[24:25], v[20:21]
	;; [unrolled: 1-line block ×3, first 2 shown]
	v_mul_f64 v[138:139], v[48:49], s[16:17]
	v_fma_f64 v[134:135], v[38:39], s[28:29], v[134:135]
	v_add_f64 v[118:119], v[126:127], v[118:119]
	v_fma_f64 v[126:127], v[34:35], s[22:23], -v[128:129]
	v_fma_f64 v[86:87], v[38:39], s[18:19], v[70:71]
	v_add_f64 v[58:59], v[88:89], v[84:85]
	v_fma_f64 v[60:61], v[34:35], s[12:13], v[68:69]
	v_mul_f64 v[24:25], v[52:53], s[0:1]
	v_fma_f64 v[26:27], v[38:39], s[14:15], v[70:71]
	v_add_f64 v[30:31], v[30:31], v[46:47]
	v_mul_f64 v[38:39], v[48:49], s[8:9]
	v_fma_f64 v[34:35], v[34:35], s[12:13], -v[68:69]
	v_add_f64 v[44:45], v[50:51], v[44:45]
	v_add_f64 v[16:17], v[16:17], v[20:21]
	;; [unrolled: 1-line block ×3, first 2 shown]
	v_fma_f64 v[114:115], v[36:37], s[6:7], v[138:139]
	v_fma_f64 v[66:67], v[32:33], s[16:17], v[112:113]
	v_fma_f64 v[74:75], v[36:37], s[6:7], -v[138:139]
	v_add_f64 v[54:55], v[60:61], v[58:59]
	v_fma_f64 v[20:21], v[32:33], s[4:5], v[24:25]
	v_fma_f64 v[22:23], v[32:33], s[8:9], v[24:25]
	v_add_f64 v[24:25], v[26:27], v[30:31]
	v_fma_f64 v[26:27], v[36:37], s[0:1], v[38:39]
	v_fma_f64 v[30:31], v[36:37], s[0:1], -v[38:39]
	v_add_f64 v[32:33], v[34:35], v[44:45]
	v_add_f64 v[34:35], v[12:13], v[16:17]
	;; [unrolled: 1-line block ×15, first 2 shown]
	v_mov_b32_e32 v8, s3
	v_add_co_u32_e32 v10, vcc, s2, v42
	v_addc_co_u32_e32 v11, vcc, v8, v43, vcc
	v_lshlrev_b64 v[8:9], 4, v[40:41]
	v_add_co_u32_e32 v8, vcc, v10, v8
	v_addc_co_u32_e32 v9, vcc, v11, v9, vcc
	global_store_dwordx4 v[8:9], v[24:27], off
	global_store_dwordx4 v[8:9], v[20:23], off offset:432
	global_store_dwordx4 v[8:9], v[12:15], off offset:864
	;; [unrolled: 1-line block ×9, first 2 shown]
	v_add_co_u32_e32 v0, vcc, 0x1000, v8
	v_addc_co_u32_e32 v1, vcc, 0, v9, vcc
	global_store_dwordx4 v[0:1], v[16:19], off offset:224
	s_endpgm
	.section	.rodata,"a",@progbits
	.p2align	6, 0x0
	.amdhsa_kernel fft_rtc_fwd_len297_factors_9_3_11_wgs_231_tpt_33_halfLds_dp_ip_CI_unitstride_sbrr_dirReg
		.amdhsa_group_segment_fixed_size 0
		.amdhsa_private_segment_fixed_size 0
		.amdhsa_kernarg_size 88
		.amdhsa_user_sgpr_count 6
		.amdhsa_user_sgpr_private_segment_buffer 1
		.amdhsa_user_sgpr_dispatch_ptr 0
		.amdhsa_user_sgpr_queue_ptr 0
		.amdhsa_user_sgpr_kernarg_segment_ptr 1
		.amdhsa_user_sgpr_dispatch_id 0
		.amdhsa_user_sgpr_flat_scratch_init 0
		.amdhsa_user_sgpr_private_segment_size 0
		.amdhsa_uses_dynamic_stack 0
		.amdhsa_system_sgpr_private_segment_wavefront_offset 0
		.amdhsa_system_sgpr_workgroup_id_x 1
		.amdhsa_system_sgpr_workgroup_id_y 0
		.amdhsa_system_sgpr_workgroup_id_z 0
		.amdhsa_system_sgpr_workgroup_info 0
		.amdhsa_system_vgpr_workitem_id 0
		.amdhsa_next_free_vgpr 142
		.amdhsa_next_free_sgpr 32
		.amdhsa_reserve_vcc 1
		.amdhsa_reserve_flat_scratch 0
		.amdhsa_float_round_mode_32 0
		.amdhsa_float_round_mode_16_64 0
		.amdhsa_float_denorm_mode_32 3
		.amdhsa_float_denorm_mode_16_64 3
		.amdhsa_dx10_clamp 1
		.amdhsa_ieee_mode 1
		.amdhsa_fp16_overflow 0
		.amdhsa_exception_fp_ieee_invalid_op 0
		.amdhsa_exception_fp_denorm_src 0
		.amdhsa_exception_fp_ieee_div_zero 0
		.amdhsa_exception_fp_ieee_overflow 0
		.amdhsa_exception_fp_ieee_underflow 0
		.amdhsa_exception_fp_ieee_inexact 0
		.amdhsa_exception_int_div_zero 0
	.end_amdhsa_kernel
	.text
.Lfunc_end0:
	.size	fft_rtc_fwd_len297_factors_9_3_11_wgs_231_tpt_33_halfLds_dp_ip_CI_unitstride_sbrr_dirReg, .Lfunc_end0-fft_rtc_fwd_len297_factors_9_3_11_wgs_231_tpt_33_halfLds_dp_ip_CI_unitstride_sbrr_dirReg
                                        ; -- End function
	.section	.AMDGPU.csdata,"",@progbits
; Kernel info:
; codeLenInByte = 6700
; NumSgprs: 36
; NumVgprs: 142
; ScratchSize: 0
; MemoryBound: 1
; FloatMode: 240
; IeeeMode: 1
; LDSByteSize: 0 bytes/workgroup (compile time only)
; SGPRBlocks: 4
; VGPRBlocks: 35
; NumSGPRsForWavesPerEU: 36
; NumVGPRsForWavesPerEU: 142
; Occupancy: 1
; WaveLimiterHint : 1
; COMPUTE_PGM_RSRC2:SCRATCH_EN: 0
; COMPUTE_PGM_RSRC2:USER_SGPR: 6
; COMPUTE_PGM_RSRC2:TRAP_HANDLER: 0
; COMPUTE_PGM_RSRC2:TGID_X_EN: 1
; COMPUTE_PGM_RSRC2:TGID_Y_EN: 0
; COMPUTE_PGM_RSRC2:TGID_Z_EN: 0
; COMPUTE_PGM_RSRC2:TIDIG_COMP_CNT: 0
	.type	__hip_cuid_ca6155f81768bdd,@object ; @__hip_cuid_ca6155f81768bdd
	.section	.bss,"aw",@nobits
	.globl	__hip_cuid_ca6155f81768bdd
__hip_cuid_ca6155f81768bdd:
	.byte	0                               ; 0x0
	.size	__hip_cuid_ca6155f81768bdd, 1

	.ident	"AMD clang version 19.0.0git (https://github.com/RadeonOpenCompute/llvm-project roc-6.4.0 25133 c7fe45cf4b819c5991fe208aaa96edf142730f1d)"
	.section	".note.GNU-stack","",@progbits
	.addrsig
	.addrsig_sym __hip_cuid_ca6155f81768bdd
	.amdgpu_metadata
---
amdhsa.kernels:
  - .args:
      - .actual_access:  read_only
        .address_space:  global
        .offset:         0
        .size:           8
        .value_kind:     global_buffer
      - .offset:         8
        .size:           8
        .value_kind:     by_value
      - .actual_access:  read_only
        .address_space:  global
        .offset:         16
        .size:           8
        .value_kind:     global_buffer
      - .actual_access:  read_only
        .address_space:  global
        .offset:         24
        .size:           8
        .value_kind:     global_buffer
      - .offset:         32
        .size:           8
        .value_kind:     by_value
      - .actual_access:  read_only
        .address_space:  global
        .offset:         40
        .size:           8
        .value_kind:     global_buffer
      - .actual_access:  read_only
        .address_space:  global
        .offset:         48
        .size:           8
        .value_kind:     global_buffer
      - .offset:         56
        .size:           4
        .value_kind:     by_value
      - .actual_access:  read_only
        .address_space:  global
        .offset:         64
        .size:           8
        .value_kind:     global_buffer
      - .actual_access:  read_only
        .address_space:  global
        .offset:         72
        .size:           8
        .value_kind:     global_buffer
      - .address_space:  global
        .offset:         80
        .size:           8
        .value_kind:     global_buffer
    .group_segment_fixed_size: 0
    .kernarg_segment_align: 8
    .kernarg_segment_size: 88
    .language:       OpenCL C
    .language_version:
      - 2
      - 0
    .max_flat_workgroup_size: 231
    .name:           fft_rtc_fwd_len297_factors_9_3_11_wgs_231_tpt_33_halfLds_dp_ip_CI_unitstride_sbrr_dirReg
    .private_segment_fixed_size: 0
    .sgpr_count:     36
    .sgpr_spill_count: 0
    .symbol:         fft_rtc_fwd_len297_factors_9_3_11_wgs_231_tpt_33_halfLds_dp_ip_CI_unitstride_sbrr_dirReg.kd
    .uniform_work_group_size: 1
    .uses_dynamic_stack: false
    .vgpr_count:     142
    .vgpr_spill_count: 0
    .wavefront_size: 64
amdhsa.target:   amdgcn-amd-amdhsa--gfx906
amdhsa.version:
  - 1
  - 2
...

	.end_amdgpu_metadata
